;; amdgpu-corpus repo=zjin-lcf/HeCBench kind=compiled arch=gfx906 opt=O3
	.amdgcn_target "amdgcn-amd-amdhsa--gfx906"
	.amdhsa_code_object_version 6
	.text
	.protected	_Z18kernel_512_one_128PKfS0_S0_S0_Pf ; -- Begin function _Z18kernel_512_one_128PKfS0_S0_S0_Pf
	.globl	_Z18kernel_512_one_128PKfS0_S0_S0_Pf
	.p2align	8
	.type	_Z18kernel_512_one_128PKfS0_S0_S0_Pf,@function
_Z18kernel_512_one_128PKfS0_S0_S0_Pf:   ; @_Z18kernel_512_one_128PKfS0_S0_S0_Pf
; %bb.0:
	s_load_dwordx8 s[8:15], s[4:5], 0x0
	v_lshl_add_u32 v2, v1, 7, v0
	v_lshl_add_u32 v3, s6, 11, v2
	v_ashrrev_i32_e32 v4, 31, v3
	v_lshlrev_b64 v[4:5], 2, v[3:4]
	v_add_u32_e32 v6, 0x400, v3
	v_ashrrev_i32_e32 v7, 31, v6
	s_waitcnt lgkmcnt(0)
	v_mov_b32_e32 v10, s9
	v_add_co_u32_e32 v4, vcc, s8, v4
	v_lshlrev_b64 v[6:7], 2, v[6:7]
	v_add_u32_e32 v8, 0x600, v3
	v_addc_co_u32_e32 v5, vcc, v10, v5, vcc
	v_ashrrev_i32_e32 v9, 31, v8
	v_add_co_u32_e32 v6, vcc, s8, v6
	v_lshlrev_b64 v[8:9], 2, v[8:9]
	v_addc_co_u32_e32 v7, vcc, v10, v7, vcc
	v_add_co_u32_e32 v8, vcc, s8, v8
	v_lshlrev_b32_e32 v0, 2, v0
	v_addc_co_u32_e32 v9, vcc, v10, v9, vcc
	global_load_dword v10, v[4:5], off
	global_load_dword v11, v[4:5], off offset:2048
	global_load_dword v12, v[6:7], off
	global_load_dword v13, v[8:9], off
	s_nop 0
	global_load_dword v7, v0, s[12:13]
	global_load_dword v8, v0, s[14:15]
	s_load_dwordx2 s[2:3], s[4:5], 0x20
	v_lshlrev_b32_e32 v5, 2, v2
	v_lshl_add_u32 v3, v1, 11, 0
	v_add_u32_e32 v1, 0, v0
	v_add_u32_e32 v0, 0, v5
	v_mov_b32_e32 v6, s11
	v_add_co_u32_e32 v5, vcc, s10, v5
	s_mov_b32 s1, 0
	s_movk_i32 s7, 0x2000
	s_movk_i32 s8, 0x1000
	;; [unrolled: 1-line block ×6, first 2 shown]
	v_add_u32_e32 v4, 0x2000, v1
	v_addc_co_u32_e32 v6, vcc, 0, v6, vcc
	s_mov_b32 s4, 0
	v_mov_b32_e32 v9, 0
	s_waitcnt vmcnt(4)
	ds_write2st64_b32 v0, v10, v11 offset1:8
	s_waitcnt vmcnt(2)
	ds_write2st64_b32 v0, v12, v13 offset0:16 offset1:24
	s_waitcnt vmcnt(0)
	ds_write2st64_b32 v1, v7, v8 offset0:168 offset1:170
	ds_write_b32 v0, v9 offset:40960
	s_waitcnt lgkmcnt(0)
	s_barrier
.LBB0_1:                                ; =>This Loop Header: Depth=1
                                        ;     Child Loop BB0_2 Depth 2
	s_lshl_b32 s0, s4, 7
	s_lshl_b64 s[10:11], s[0:1], 2
	v_mov_b32_e32 v8, s11
	v_add_co_u32_e32 v7, vcc, s10, v5
	v_addc_co_u32_e32 v8, vcc, v6, v8, vcc
	v_add_co_u32_e32 v9, vcc, s8, v7
	v_addc_co_u32_e32 v10, vcc, 0, v8, vcc
	;; [unrolled: 2-line block ×8, first 2 shown]
	global_load_dword v23, v[7:8], off
	global_load_dword v24, v[7:8], off offset:2048
	global_load_dword v25, v[9:10], off offset:2048
	global_load_dword v26, v[11:12], off offset:-4096
	global_load_dword v27, v[13:14], off offset:2048
	global_load_dword v28, v[11:12], off
	global_load_dword v29, v[11:12], off offset:2048
	global_load_dword v30, v[15:16], off offset:-4096
	global_load_dword v31, v[15:16], off
                                        ; kill: killed $vgpr13 killed $vgpr14
                                        ; kill: killed $vgpr11 killed $vgpr12
                                        ; kill: killed $vgpr9 killed $vgpr10
                                        ; kill: killed $vgpr7 killed $vgpr8
	global_load_dword v7, v[15:16], off offset:2048
	global_load_dword v8, v[19:20], off offset:-4096
	global_load_dword v9, v[19:20], off
	global_load_dword v10, v[19:20], off offset:2048
	global_load_dword v11, v[17:18], off offset:2048
	global_load_dword v12, v[21:22], off
	global_load_dword v13, v[21:22], off offset:2048
	s_mov_b32 s0, 0
	s_waitcnt vmcnt(14)
	ds_write2st64_b32 v0, v23, v24 offset0:32 offset1:40
	s_waitcnt vmcnt(12)
	ds_write2st64_b32 v0, v26, v25 offset0:48 offset1:56
	;; [unrolled: 2-line block ×6, first 2 shown]
	ds_write2st64_b32 v0, v9, v10 offset0:128 offset1:136
	s_waitcnt vmcnt(0)
	ds_write2st64_b32 v0, v12, v13 offset0:144 offset1:152
	s_waitcnt lgkmcnt(0)
	s_barrier
	ds_read_b32 v7, v0 offset:40960
	v_mov_b32_e32 v8, v4
.LBB0_2:                                ;   Parent Loop BB0_1 Depth=1
                                        ; =>  This Inner Loop Header: Depth=2
	v_add_u32_e32 v9, s0, v3
	ds_read_b32 v10, v8
	ds_read_b32 v11, v9
	s_add_i32 s0, s0, 64
	s_cmpk_eq_i32 s0, 0x100
	s_waitcnt lgkmcnt(0)
	v_fmac_f32_e32 v7, v11, v10
	ds_write_b32 v0, v7 offset:40960
	ds_read_b32 v10, v9 offset:4
	ds_read_b32 v11, v8 offset:512
	s_waitcnt lgkmcnt(0)
	v_fmac_f32_e32 v7, v10, v11
	ds_write_b32 v0, v7 offset:40960
	ds_read_b32 v10, v9 offset:8
	ds_read_b32 v11, v8 offset:1024
	;; [unrolled: 5-line block ×15, first 2 shown]
	v_add_u32_e32 v8, 0x2000, v8
	s_waitcnt lgkmcnt(0)
	v_fmac_f32_e32 v7, v9, v10
	ds_write_b32 v0, v7 offset:40960
	s_cbranch_scc0 .LBB0_2
; %bb.3:                                ;   in Loop: Header=BB0_1 Depth=1
	s_add_i32 s0, s4, 64
	v_add_u32_e32 v3, 0x100, v3
	s_cmpk_gt_u32 s4, 0x1bf
	s_mov_b32 s4, s0
	s_waitcnt lgkmcnt(0)
	s_barrier
	s_cbranch_scc0 .LBB0_1
; %bb.4:
	ds_read2st64_b32 v[3:4], v1 offset0:168 offset1:170
	ds_read_b32 v0, v0 offset:40960
	s_lshl_b32 s0, s6, 9
	s_ashr_i32 s1, s0, 31
	s_lshl_b64 s[0:1], s[0:1], 2
	s_add_u32 s0, s2, s0
	s_waitcnt lgkmcnt(0)
	v_fmac_f32_e32 v3, v4, v0
	s_addc_u32 s1, s3, s1
	v_max_f32_e32 v0, 0, v3
	v_lshlrev_b32_e32 v1, 2, v2
	global_store_dword v1, v0, s[0:1]
	s_endpgm
	.section	.rodata,"a",@progbits
	.p2align	6, 0x0
	.amdhsa_kernel _Z18kernel_512_one_128PKfS0_S0_S0_Pf
		.amdhsa_group_segment_fixed_size 0
		.amdhsa_private_segment_fixed_size 0
		.amdhsa_kernarg_size 40
		.amdhsa_user_sgpr_count 6
		.amdhsa_user_sgpr_private_segment_buffer 1
		.amdhsa_user_sgpr_dispatch_ptr 0
		.amdhsa_user_sgpr_queue_ptr 0
		.amdhsa_user_sgpr_kernarg_segment_ptr 1
		.amdhsa_user_sgpr_dispatch_id 0
		.amdhsa_user_sgpr_flat_scratch_init 0
		.amdhsa_user_sgpr_private_segment_size 0
		.amdhsa_uses_dynamic_stack 0
		.amdhsa_system_sgpr_private_segment_wavefront_offset 0
		.amdhsa_system_sgpr_workgroup_id_x 1
		.amdhsa_system_sgpr_workgroup_id_y 0
		.amdhsa_system_sgpr_workgroup_id_z 0
		.amdhsa_system_sgpr_workgroup_info 0
		.amdhsa_system_vgpr_workitem_id 1
		.amdhsa_next_free_vgpr 32
		.amdhsa_next_free_sgpr 16
		.amdhsa_reserve_vcc 1
		.amdhsa_reserve_flat_scratch 0
		.amdhsa_float_round_mode_32 0
		.amdhsa_float_round_mode_16_64 0
		.amdhsa_float_denorm_mode_32 3
		.amdhsa_float_denorm_mode_16_64 3
		.amdhsa_dx10_clamp 1
		.amdhsa_ieee_mode 1
		.amdhsa_fp16_overflow 0
		.amdhsa_exception_fp_ieee_invalid_op 0
		.amdhsa_exception_fp_denorm_src 0
		.amdhsa_exception_fp_ieee_div_zero 0
		.amdhsa_exception_fp_ieee_overflow 0
		.amdhsa_exception_fp_ieee_underflow 0
		.amdhsa_exception_fp_ieee_inexact 0
		.amdhsa_exception_int_div_zero 0
	.end_amdhsa_kernel
	.text
.Lfunc_end0:
	.size	_Z18kernel_512_one_128PKfS0_S0_S0_Pf, .Lfunc_end0-_Z18kernel_512_one_128PKfS0_S0_S0_Pf
                                        ; -- End function
	.set _Z18kernel_512_one_128PKfS0_S0_S0_Pf.num_vgpr, 32
	.set _Z18kernel_512_one_128PKfS0_S0_S0_Pf.num_agpr, 0
	.set _Z18kernel_512_one_128PKfS0_S0_S0_Pf.numbered_sgpr, 16
	.set _Z18kernel_512_one_128PKfS0_S0_S0_Pf.num_named_barrier, 0
	.set _Z18kernel_512_one_128PKfS0_S0_S0_Pf.private_seg_size, 0
	.set _Z18kernel_512_one_128PKfS0_S0_S0_Pf.uses_vcc, 1
	.set _Z18kernel_512_one_128PKfS0_S0_S0_Pf.uses_flat_scratch, 0
	.set _Z18kernel_512_one_128PKfS0_S0_S0_Pf.has_dyn_sized_stack, 0
	.set _Z18kernel_512_one_128PKfS0_S0_S0_Pf.has_recursion, 0
	.set _Z18kernel_512_one_128PKfS0_S0_S0_Pf.has_indirect_call, 0
	.section	.AMDGPU.csdata,"",@progbits
; Kernel info:
; codeLenInByte = 1256
; TotalNumSgprs: 20
; NumVgprs: 32
; ScratchSize: 0
; MemoryBound: 0
; FloatMode: 240
; IeeeMode: 1
; LDSByteSize: 0 bytes/workgroup (compile time only)
; SGPRBlocks: 2
; VGPRBlocks: 7
; NumSGPRsForWavesPerEU: 20
; NumVGPRsForWavesPerEU: 32
; Occupancy: 8
; WaveLimiterHint : 1
; COMPUTE_PGM_RSRC2:SCRATCH_EN: 0
; COMPUTE_PGM_RSRC2:USER_SGPR: 6
; COMPUTE_PGM_RSRC2:TRAP_HANDLER: 0
; COMPUTE_PGM_RSRC2:TGID_X_EN: 1
; COMPUTE_PGM_RSRC2:TGID_Y_EN: 0
; COMPUTE_PGM_RSRC2:TGID_Z_EN: 0
; COMPUTE_PGM_RSRC2:TIDIG_COMP_CNT: 1
	.text
	.protected	_Z18kernel_128_one_512PKfS0_S0_S0_Pf ; -- Begin function _Z18kernel_128_one_512PKfS0_S0_S0_Pf
	.globl	_Z18kernel_128_one_512PKfS0_S0_S0_Pf
	.p2align	8
	.type	_Z18kernel_128_one_512PKfS0_S0_S0_Pf,@function
_Z18kernel_128_one_512PKfS0_S0_S0_Pf:   ; @_Z18kernel_128_one_512PKfS0_S0_S0_Pf
; %bb.0:
	v_lshl_add_u32 v4, v1, 7, v0
	s_load_dwordx8 s[8:15], s[4:5], 0x0
	s_load_dwordx2 s[0:1], s[4:5], 0x20
	v_lshl_add_u32 v2, s6, 9, v4
	v_ashrrev_i32_e32 v3, 31, v2
	v_lshlrev_b64 v[2:3], 2, v[2:3]
	s_waitcnt lgkmcnt(0)
	v_mov_b32_e32 v5, s9
	v_add_co_u32_e32 v2, vcc, s8, v2
	v_addc_co_u32_e32 v3, vcc, v5, v3, vcc
	global_load_dword v2, v[2:3], off
	s_lshl_b32 s2, s7, 7
	v_add_u32_e32 v7, s2, v0
	v_ashrrev_i32_e32 v8, 31, v7
	v_lshlrev_b64 v[5:6], 2, v[7:8]
	v_lshl_add_u32 v3, v4, 2, 0
	v_add_co_u32_e32 v8, vcc, s12, v5
	v_lshl_add_u32 v4, v0, 2, 0
	s_mov_b32 s3, 0
	s_waitcnt vmcnt(0)
	ds_write_b32 v3, v2
	v_mov_b32_e32 v2, s13
	v_addc_co_u32_e32 v9, vcc, v2, v6, vcc
	global_load_dword v2, v[8:9], off
	v_add_co_u32_e32 v5, vcc, s14, v5
	v_mov_b32_e32 v8, s15
	v_addc_co_u32_e32 v6, vcc, v8, v6, vcc
	global_load_dword v5, v[5:6], off
	s_waitcnt vmcnt(0)
	ds_write2st64_b32 v4, v2, v5 offset0:144 offset1:146
	v_lshlrev_b32_e32 v5, 9, v1
	v_mov_b32_e32 v2, 0
	v_add_u32_e32 v1, v7, v5
	ds_write_b32 v3, v2 offset:34816
	v_ashrrev_i32_e32 v2, 31, v1
	v_lshlrev_b64 v[7:8], 2, v[1:2]
	v_mov_b32_e32 v2, s11
	v_add_co_u32_e32 v7, vcc, s10, v7
	v_addc_co_u32_e32 v8, vcc, v2, v8, vcc
	s_waitcnt lgkmcnt(0)
	s_barrier
	global_load_dword v9, v[7:8], off
	v_add_u32_e32 v7, 0x800, v1
	v_ashrrev_i32_e32 v8, 31, v7
	v_lshlrev_b64 v[7:8], 2, v[7:8]
	v_add_u32_e32 v6, 0, v5
	v_add_co_u32_e32 v7, vcc, s10, v7
	v_addc_co_u32_e32 v8, vcc, v2, v8, vcc
	global_load_dword v7, v[7:8], off
	s_waitcnt vmcnt(0)
	ds_write2st64_b32 v3, v9, v7 offset0:8 offset1:16
	v_add_u32_e32 v7, 0x1000, v1
	v_ashrrev_i32_e32 v8, 31, v7
	v_lshlrev_b64 v[7:8], 2, v[7:8]
	v_add_co_u32_e32 v7, vcc, s10, v7
	v_addc_co_u32_e32 v8, vcc, v2, v8, vcc
	global_load_dword v9, v[7:8], off
	v_add_u32_e32 v7, 0x1800, v1
	v_ashrrev_i32_e32 v8, 31, v7
	v_lshlrev_b64 v[7:8], 2, v[7:8]
	v_add_co_u32_e32 v7, vcc, s10, v7
	v_addc_co_u32_e32 v8, vcc, v2, v8, vcc
	global_load_dword v7, v[7:8], off
	s_waitcnt vmcnt(0)
	ds_write2st64_b32 v3, v9, v7 offset0:24 offset1:32
	v_add_u32_e32 v7, 0x2000, v1
	v_ashrrev_i32_e32 v8, 31, v7
	v_lshlrev_b64 v[7:8], 2, v[7:8]
	v_add_co_u32_e32 v7, vcc, s10, v7
	v_addc_co_u32_e32 v8, vcc, v2, v8, vcc
	global_load_dword v9, v[7:8], off
	v_add_u32_e32 v7, 0x2800, v1
	v_ashrrev_i32_e32 v8, 31, v7
	v_lshlrev_b64 v[7:8], 2, v[7:8]
	;; [unrolled: 14-line block ×7, first 2 shown]
	v_add_co_u32_e32 v7, vcc, s10, v7
	v_addc_co_u32_e32 v8, vcc, v2, v8, vcc
	global_load_dword v2, v[7:8], off
	s_waitcnt vmcnt(0)
	ds_write2st64_b32 v3, v9, v2 offset0:120 offset1:128
	s_waitcnt lgkmcnt(0)
	s_barrier
	ds_read_b32 v7, v3 offset:34816
	v_add_u32_e32 v2, 0x800, v4
	v_mov_b32_e32 v8, v2
.LBB1_1:                                ; =>This Inner Loop Header: Depth=1
	v_add_u32_e32 v9, s3, v6
	ds_read_b32 v10, v8
	ds_read_b32 v11, v9
	s_add_i32 s3, s3, 64
	s_cmpk_eq_i32 s3, 0x100
	s_waitcnt lgkmcnt(0)
	v_fmac_f32_e32 v7, v11, v10
	ds_write_b32 v3, v7 offset:34816
	ds_read_b32 v10, v9 offset:4
	ds_read_b32 v11, v8 offset:512
	s_waitcnt lgkmcnt(0)
	v_fmac_f32_e32 v7, v10, v11
	ds_write_b32 v3, v7 offset:34816
	ds_read_b32 v10, v9 offset:8
	ds_read_b32 v11, v8 offset:1024
	;; [unrolled: 5-line block ×15, first 2 shown]
	v_add_u32_e32 v8, 0x2000, v8
	s_waitcnt lgkmcnt(0)
	v_fmac_f32_e32 v7, v9, v10
	ds_write_b32 v3, v7 offset:34816
	s_cbranch_scc0 .LBB1_1
; %bb.2:
	v_add_u32_e32 v7, 0x8000, v1
	v_ashrrev_i32_e32 v8, 31, v7
	v_lshlrev_b64 v[7:8], 2, v[7:8]
	v_mov_b32_e32 v9, s11
	v_add_co_u32_e32 v7, vcc, s10, v7
	v_addc_co_u32_e32 v8, vcc, v9, v8, vcc
	s_waitcnt lgkmcnt(0)
	s_barrier
	global_load_dword v9, v[7:8], off
	v_add_u32_e32 v7, 0x8800, v1
	v_ashrrev_i32_e32 v8, 31, v7
	v_lshlrev_b64 v[7:8], 2, v[7:8]
	v_mov_b32_e32 v10, s11
	v_add_co_u32_e32 v7, vcc, s10, v7
	v_addc_co_u32_e32 v8, vcc, v10, v8, vcc
	global_load_dword v7, v[7:8], off
	s_mov_b32 s3, 0
	v_add_u32_e32 v6, 0x100, v6
	s_waitcnt vmcnt(0)
	ds_write2st64_b32 v3, v9, v7 offset0:8 offset1:16
	v_add_u32_e32 v7, 0x9000, v1
	v_ashrrev_i32_e32 v8, 31, v7
	v_lshlrev_b64 v[7:8], 2, v[7:8]
	v_mov_b32_e32 v9, s11
	v_add_co_u32_e32 v7, vcc, s10, v7
	v_addc_co_u32_e32 v8, vcc, v9, v8, vcc
	global_load_dword v9, v[7:8], off
	v_add_u32_e32 v7, 0x9800, v1
	v_ashrrev_i32_e32 v8, 31, v7
	v_lshlrev_b64 v[7:8], 2, v[7:8]
	v_add_co_u32_e32 v7, vcc, s10, v7
	v_addc_co_u32_e32 v8, vcc, v10, v8, vcc
	global_load_dword v7, v[7:8], off
	s_waitcnt vmcnt(0)
	ds_write2st64_b32 v3, v9, v7 offset0:24 offset1:32
	v_add_u32_e32 v7, 0xa000, v1
	v_ashrrev_i32_e32 v8, 31, v7
	v_lshlrev_b64 v[7:8], 2, v[7:8]
	v_mov_b32_e32 v9, s11
	v_add_co_u32_e32 v7, vcc, s10, v7
	v_addc_co_u32_e32 v8, vcc, v9, v8, vcc
	global_load_dword v9, v[7:8], off
	v_add_u32_e32 v7, 0xa800, v1
	v_ashrrev_i32_e32 v8, 31, v7
	v_lshlrev_b64 v[7:8], 2, v[7:8]
	v_add_co_u32_e32 v7, vcc, s10, v7
	v_addc_co_u32_e32 v8, vcc, v10, v8, vcc
	global_load_dword v7, v[7:8], off
	;; [unrolled: 15-line block ×6, first 2 shown]
	s_waitcnt vmcnt(0)
	ds_write2st64_b32 v3, v9, v7 offset0:104 offset1:112
	v_add_u32_e32 v7, 0xf000, v1
	v_ashrrev_i32_e32 v8, 31, v7
	v_lshlrev_b64 v[7:8], 2, v[7:8]
	v_mov_b32_e32 v9, s11
	v_add_co_u32_e32 v7, vcc, s10, v7
	v_addc_co_u32_e32 v8, vcc, v9, v8, vcc
	global_load_dword v9, v[7:8], off
	v_add_u32_e32 v7, 0xf800, v1
	v_ashrrev_i32_e32 v8, 31, v7
	v_lshlrev_b64 v[7:8], 2, v[7:8]
	v_mov_b32_e32 v1, s11
	v_add_co_u32_e32 v7, vcc, s10, v7
	v_addc_co_u32_e32 v8, vcc, v1, v8, vcc
	global_load_dword v1, v[7:8], off
	s_waitcnt vmcnt(0)
	ds_write2st64_b32 v3, v9, v1 offset0:120 offset1:128
	s_waitcnt lgkmcnt(0)
	s_barrier
	ds_read_b32 v1, v3 offset:34816
.LBB1_3:                                ; =>This Inner Loop Header: Depth=1
	v_add_u32_e32 v7, s3, v6
	ds_read_b32 v8, v2
	ds_read_b32 v9, v7
	s_add_i32 s3, s3, 64
	s_cmpk_lg_i32 s3, 0x100
	s_waitcnt lgkmcnt(0)
	v_fmac_f32_e32 v1, v9, v8
	ds_write_b32 v3, v1 offset:34816
	ds_read_b32 v8, v7 offset:4
	ds_read_b32 v9, v2 offset:512
	s_waitcnt lgkmcnt(0)
	v_fmac_f32_e32 v1, v8, v9
	ds_write_b32 v3, v1 offset:34816
	ds_read_b32 v8, v7 offset:8
	ds_read_b32 v9, v2 offset:1024
	;; [unrolled: 5-line block ×15, first 2 shown]
	v_add_u32_e32 v2, 0x2000, v2
	s_waitcnt lgkmcnt(0)
	v_fmac_f32_e32 v1, v7, v8
	ds_write_b32 v3, v1 offset:34816
	s_cbranch_scc1 .LBB1_3
; %bb.4:
	s_lshl_b32 s4, s6, 11
	s_ashr_i32 s5, s4, 31
	s_waitcnt lgkmcnt(0)
	s_barrier
	s_lshl_b64 s[4:5], s[4:5], 2
	ds_read2st64_b32 v[1:2], v4 offset0:144 offset1:146
	ds_read_b32 v3, v3 offset:34816
	s_add_u32 s4, s0, s4
	s_addc_u32 s5, s1, s5
	s_ashr_i32 s3, s2, 31
	s_lshl_b64 s[0:1], s[2:3], 2
	s_add_u32 s0, s4, s0
	s_addc_u32 s1, s5, s1
	s_waitcnt lgkmcnt(0)
	v_fmac_f32_e32 v1, v2, v3
	v_add_lshl_u32 v0, v5, v0, 2
	global_store_dword v0, v1, s[0:1]
	s_endpgm
	.section	.rodata,"a",@progbits
	.p2align	6, 0x0
	.amdhsa_kernel _Z18kernel_128_one_512PKfS0_S0_S0_Pf
		.amdhsa_group_segment_fixed_size 0
		.amdhsa_private_segment_fixed_size 0
		.amdhsa_kernarg_size 40
		.amdhsa_user_sgpr_count 6
		.amdhsa_user_sgpr_private_segment_buffer 1
		.amdhsa_user_sgpr_dispatch_ptr 0
		.amdhsa_user_sgpr_queue_ptr 0
		.amdhsa_user_sgpr_kernarg_segment_ptr 1
		.amdhsa_user_sgpr_dispatch_id 0
		.amdhsa_user_sgpr_flat_scratch_init 0
		.amdhsa_user_sgpr_private_segment_size 0
		.amdhsa_uses_dynamic_stack 0
		.amdhsa_system_sgpr_private_segment_wavefront_offset 0
		.amdhsa_system_sgpr_workgroup_id_x 1
		.amdhsa_system_sgpr_workgroup_id_y 1
		.amdhsa_system_sgpr_workgroup_id_z 0
		.amdhsa_system_sgpr_workgroup_info 0
		.amdhsa_system_vgpr_workitem_id 1
		.amdhsa_next_free_vgpr 12
		.amdhsa_next_free_sgpr 16
		.amdhsa_reserve_vcc 1
		.amdhsa_reserve_flat_scratch 0
		.amdhsa_float_round_mode_32 0
		.amdhsa_float_round_mode_16_64 0
		.amdhsa_float_denorm_mode_32 3
		.amdhsa_float_denorm_mode_16_64 3
		.amdhsa_dx10_clamp 1
		.amdhsa_ieee_mode 1
		.amdhsa_fp16_overflow 0
		.amdhsa_exception_fp_ieee_invalid_op 0
		.amdhsa_exception_fp_denorm_src 0
		.amdhsa_exception_fp_ieee_div_zero 0
		.amdhsa_exception_fp_ieee_overflow 0
		.amdhsa_exception_fp_ieee_underflow 0
		.amdhsa_exception_fp_ieee_inexact 0
		.amdhsa_exception_int_div_zero 0
	.end_amdhsa_kernel
	.text
.Lfunc_end1:
	.size	_Z18kernel_128_one_512PKfS0_S0_S0_Pf, .Lfunc_end1-_Z18kernel_128_one_512PKfS0_S0_S0_Pf
                                        ; -- End function
	.set _Z18kernel_128_one_512PKfS0_S0_S0_Pf.num_vgpr, 12
	.set _Z18kernel_128_one_512PKfS0_S0_S0_Pf.num_agpr, 0
	.set _Z18kernel_128_one_512PKfS0_S0_S0_Pf.numbered_sgpr, 16
	.set _Z18kernel_128_one_512PKfS0_S0_S0_Pf.num_named_barrier, 0
	.set _Z18kernel_128_one_512PKfS0_S0_S0_Pf.private_seg_size, 0
	.set _Z18kernel_128_one_512PKfS0_S0_S0_Pf.uses_vcc, 1
	.set _Z18kernel_128_one_512PKfS0_S0_S0_Pf.uses_flat_scratch, 0
	.set _Z18kernel_128_one_512PKfS0_S0_S0_Pf.has_dyn_sized_stack, 0
	.set _Z18kernel_128_one_512PKfS0_S0_S0_Pf.has_recursion, 0
	.set _Z18kernel_128_one_512PKfS0_S0_S0_Pf.has_indirect_call, 0
	.section	.AMDGPU.csdata,"",@progbits
; Kernel info:
; codeLenInByte = 2808
; TotalNumSgprs: 20
; NumVgprs: 12
; ScratchSize: 0
; MemoryBound: 0
; FloatMode: 240
; IeeeMode: 1
; LDSByteSize: 0 bytes/workgroup (compile time only)
; SGPRBlocks: 2
; VGPRBlocks: 2
; NumSGPRsForWavesPerEU: 20
; NumVGPRsForWavesPerEU: 12
; Occupancy: 10
; WaveLimiterHint : 0
; COMPUTE_PGM_RSRC2:SCRATCH_EN: 0
; COMPUTE_PGM_RSRC2:USER_SGPR: 6
; COMPUTE_PGM_RSRC2:TRAP_HANDLER: 0
; COMPUTE_PGM_RSRC2:TGID_X_EN: 1
; COMPUTE_PGM_RSRC2:TGID_Y_EN: 1
; COMPUTE_PGM_RSRC2:TGID_Z_EN: 0
; COMPUTE_PGM_RSRC2:TIDIG_COMP_CNT: 1
	.section	.AMDGPU.gpr_maximums,"",@progbits
	.set amdgpu.max_num_vgpr, 0
	.set amdgpu.max_num_agpr, 0
	.set amdgpu.max_num_sgpr, 0
	.section	.AMDGPU.csdata,"",@progbits
	.type	__hip_cuid_9e79493a5be39750,@object ; @__hip_cuid_9e79493a5be39750
	.section	.bss,"aw",@nobits
	.globl	__hip_cuid_9e79493a5be39750
__hip_cuid_9e79493a5be39750:
	.byte	0                               ; 0x0
	.size	__hip_cuid_9e79493a5be39750, 1

	.ident	"AMD clang version 22.0.0git (https://github.com/RadeonOpenCompute/llvm-project roc-7.2.4 26084 f58b06dce1f9c15707c5f808fd002e18c2accf7e)"
	.section	".note.GNU-stack","",@progbits
	.addrsig
	.addrsig_sym __hip_cuid_9e79493a5be39750
	.amdgpu_metadata
---
amdhsa.kernels:
  - .args:
      - .actual_access:  read_only
        .address_space:  global
        .offset:         0
        .size:           8
        .value_kind:     global_buffer
      - .actual_access:  read_only
        .address_space:  global
        .offset:         8
        .size:           8
        .value_kind:     global_buffer
      - .actual_access:  read_only
        .address_space:  global
        .offset:         16
        .size:           8
        .value_kind:     global_buffer
      - .actual_access:  read_only
        .address_space:  global
        .offset:         24
        .size:           8
        .value_kind:     global_buffer
      - .actual_access:  write_only
        .address_space:  global
        .offset:         32
        .size:           8
        .value_kind:     global_buffer
    .group_segment_fixed_size: 0
    .kernarg_segment_align: 8
    .kernarg_segment_size: 40
    .language:       OpenCL C
    .language_version:
      - 2
      - 0
    .max_flat_workgroup_size: 1024
    .name:           _Z18kernel_512_one_128PKfS0_S0_S0_Pf
    .private_segment_fixed_size: 0
    .sgpr_count:     20
    .sgpr_spill_count: 0
    .symbol:         _Z18kernel_512_one_128PKfS0_S0_S0_Pf.kd
    .uniform_work_group_size: 1
    .uses_dynamic_stack: false
    .vgpr_count:     32
    .vgpr_spill_count: 0
    .wavefront_size: 64
  - .args:
      - .actual_access:  read_only
        .address_space:  global
        .offset:         0
        .size:           8
        .value_kind:     global_buffer
      - .actual_access:  read_only
        .address_space:  global
        .offset:         8
        .size:           8
        .value_kind:     global_buffer
      - .actual_access:  read_only
        .address_space:  global
        .offset:         16
        .size:           8
        .value_kind:     global_buffer
      - .actual_access:  read_only
        .address_space:  global
        .offset:         24
        .size:           8
        .value_kind:     global_buffer
      - .actual_access:  write_only
        .address_space:  global
        .offset:         32
        .size:           8
        .value_kind:     global_buffer
    .group_segment_fixed_size: 0
    .kernarg_segment_align: 8
    .kernarg_segment_size: 40
    .language:       OpenCL C
    .language_version:
      - 2
      - 0
    .max_flat_workgroup_size: 1024
    .name:           _Z18kernel_128_one_512PKfS0_S0_S0_Pf
    .private_segment_fixed_size: 0
    .sgpr_count:     20
    .sgpr_spill_count: 0
    .symbol:         _Z18kernel_128_one_512PKfS0_S0_S0_Pf.kd
    .uniform_work_group_size: 1
    .uses_dynamic_stack: false
    .vgpr_count:     12
    .vgpr_spill_count: 0
    .wavefront_size: 64
amdhsa.target:   amdgcn-amd-amdhsa--gfx906
amdhsa.version:
  - 1
  - 2
...

	.end_amdgpu_metadata
